;; amdgpu-corpus repo=ROCm/rocFFT kind=compiled arch=gfx906 opt=O3
	.text
	.amdgcn_target "amdgcn-amd-amdhsa--gfx906"
	.amdhsa_code_object_version 6
	.protected	bluestein_single_fwd_len1274_dim1_sp_op_CI_CI ; -- Begin function bluestein_single_fwd_len1274_dim1_sp_op_CI_CI
	.globl	bluestein_single_fwd_len1274_dim1_sp_op_CI_CI
	.p2align	8
	.type	bluestein_single_fwd_len1274_dim1_sp_op_CI_CI,@function
bluestein_single_fwd_len1274_dim1_sp_op_CI_CI: ; @bluestein_single_fwd_len1274_dim1_sp_op_CI_CI
; %bb.0:
	s_load_dwordx4 s[12:15], s[4:5], 0x28
	v_mul_u32_u24_e32 v1, 0x169, v0
	v_add_u32_sdwa v76, s6, v1 dst_sel:DWORD dst_unused:UNUSED_PAD src0_sel:DWORD src1_sel:WORD_1
	v_mov_b32_e32 v77, 0
	s_waitcnt lgkmcnt(0)
	v_cmp_gt_u64_e32 vcc, s[12:13], v[76:77]
	s_and_saveexec_b64 s[0:1], vcc
	s_cbranch_execz .LBB0_23
; %bb.1:
	s_load_dwordx4 s[0:3], s[4:5], 0x18
	s_load_dwordx2 s[16:17], s[4:5], 0x0
	s_waitcnt lgkmcnt(0)
	s_load_dwordx4 s[8:11], s[0:1], 0x0
	s_movk_i32 s0, 0xb6
	v_mul_lo_u16_sdwa v1, v1, s0 dst_sel:DWORD dst_unused:UNUSED_PAD src0_sel:WORD_1 src1_sel:DWORD
	v_sub_u16_e32 v98, v0, v1
	v_lshlrev_b32_e32 v95, 3, v98
	s_waitcnt lgkmcnt(0)
	v_mad_u64_u32 v[0:1], s[0:1], s10, v76, 0
	v_mad_u64_u32 v[2:3], s[0:1], s8, v98, 0
	v_add_co_u32_e64 v96, s[6:7], s16, v95
	v_mad_u64_u32 v[4:5], s[0:1], s11, v76, v[1:2]
	global_load_dwordx2 v[83:84], v95, s[16:17]
	v_mad_u64_u32 v[5:6], s[0:1], s9, v98, v[3:4]
	v_mov_b32_e32 v1, v4
	v_lshlrev_b64 v[0:1], 3, v[0:1]
	v_mov_b32_e32 v6, s15
	v_mov_b32_e32 v3, v5
	v_add_co_u32_e32 v4, vcc, s14, v0
	v_addc_co_u32_e32 v5, vcc, v6, v1, vcc
	v_lshlrev_b64 v[0:1], 3, v[2:3]
	s_mul_i32 s0, s9, 0x27d
	s_mul_hi_u32 s1, s8, 0x27d
	v_add_co_u32_e32 v0, vcc, v4, v0
	v_mov_b32_e32 v2, s17
	s_add_i32 s1, s1, s0
	s_mul_i32 s0, s8, 0x27d
	v_addc_co_u32_e32 v1, vcc, v5, v1, vcc
	v_addc_co_u32_e64 v97, vcc, 0, v2, s[6:7]
	s_lshl_b64 s[14:15], s[0:1], 3
	v_mov_b32_e32 v14, s15
	v_add_co_u32_e32 v2, vcc, s14, v0
	v_addc_co_u32_e32 v3, vcc, v1, v14, vcc
	s_movk_i32 s0, 0x1000
	s_mul_hi_u32 s1, s8, 0xfffffe39
	v_add_co_u32_e32 v8, vcc, s0, v96
	s_mul_i32 s0, s9, 0xfffffe39
	s_sub_i32 s1, s1, s8
	s_add_i32 s1, s1, s0
	s_mul_i32 s0, s8, 0xfffffe39
	v_addc_co_u32_e32 v9, vcc, 0, v97, vcc
	s_lshl_b64 s[18:19], s[0:1], 3
	global_load_dwordx2 v[4:5], v[0:1], off
	global_load_dwordx2 v[6:7], v[2:3], off
	v_mov_b32_e32 v15, s19
	v_add_co_u32_e32 v0, vcc, s18, v2
	v_addc_co_u32_e32 v1, vcc, v3, v15, vcc
	v_add_co_u32_e32 v2, vcc, s14, v0
	global_load_dwordx2 v[81:82], v[8:9], off offset:1000
	global_load_dwordx2 v[79:80], v95, s[16:17] offset:1456
	v_addc_co_u32_e32 v3, vcc, v1, v14, vcc
	global_load_dwordx2 v[10:11], v[0:1], off
	global_load_dwordx2 v[12:13], v[2:3], off
	global_load_dwordx2 v[77:78], v[8:9], off offset:2456
	v_add_co_u32_e32 v0, vcc, s18, v2
	v_addc_co_u32_e32 v1, vcc, v3, v15, vcc
	global_load_dwordx2 v[2:3], v[0:1], off
	global_load_dwordx2 v[72:73], v95, s[16:17] offset:2912
	v_add_co_u32_e32 v0, vcc, s14, v0
	v_addc_co_u32_e32 v1, vcc, v1, v14, vcc
	global_load_dwordx2 v[74:75], v[8:9], off offset:3912
	global_load_dwordx2 v[14:15], v[0:1], off
	s_load_dwordx2 s[12:13], s[4:5], 0x38
	s_load_dwordx4 s[8:11], s[2:3], 0x0
	s_movk_i32 s0, 0x5b
	v_cmp_gt_u16_e64 s[0:1], s0, v98
	s_waitcnt vmcnt(10)
	v_mul_f32_e32 v8, v5, v84
	v_mul_f32_e32 v9, v4, v84
	v_fmac_f32_e32 v8, v4, v83
	v_fma_f32 v9, v5, v83, -v9
	s_waitcnt vmcnt(8)
	v_mul_f32_e32 v4, v7, v82
	v_mul_f32_e32 v5, v6, v82
	v_fmac_f32_e32 v4, v6, v81
	v_fma_f32 v5, v7, v81, -v5
	s_waitcnt vmcnt(6)
	v_mul_f32_e32 v6, v11, v80
	v_mul_f32_e32 v7, v10, v80
	v_fmac_f32_e32 v6, v10, v79
	v_fma_f32 v7, v11, v79, -v7
	ds_write_b64 v95, v[4:5] offset:5096
	ds_write2_b64 v95, v[8:9], v[6:7] offset1:182
	s_waitcnt vmcnt(2)
	v_mul_f32_e32 v6, v3, v73
	v_mul_f32_e32 v7, v2, v73
	;; [unrolled: 1-line block ×4, first 2 shown]
	v_fmac_f32_e32 v6, v2, v72
	v_fma_f32 v7, v3, v72, -v7
	s_waitcnt vmcnt(0)
	v_mul_f32_e32 v2, v15, v75
	v_mul_f32_e32 v3, v14, v75
	v_fmac_f32_e32 v4, v12, v77
	v_fma_f32 v5, v13, v77, -v5
	ds_write_b64 v95, v[6:7] offset:2912
	v_fmac_f32_e32 v2, v14, v74
	v_fma_f32 v3, v15, v74, -v3
	v_add_u32_e32 v6, 0x1800, v95
	ds_write2_b64 v6, v[4:5], v[2:3] offset0:51 offset1:233
	s_and_saveexec_b64 s[2:3], s[0:1]
	s_cbranch_execz .LBB0_3
; %bb.2:
	v_mov_b32_e32 v2, s19
	v_add_co_u32_e32 v0, vcc, s18, v0
	v_addc_co_u32_e32 v1, vcc, v1, v2, vcc
	v_add_co_u32_e32 v4, vcc, 0x1000, v96
	v_addc_co_u32_e32 v5, vcc, 0, v97, vcc
	global_load_dwordx2 v[2:3], v[0:1], off
	v_mov_b32_e32 v6, s15
	v_add_co_u32_e32 v0, vcc, s14, v0
	v_addc_co_u32_e32 v1, vcc, v1, v6, vcc
	v_add_co_u32_e32 v6, vcc, 0x2000, v96
	global_load_dwordx2 v[4:5], v[4:5], off offset:272
	v_addc_co_u32_e32 v7, vcc, 0, v97, vcc
	global_load_dwordx2 v[6:7], v[6:7], off offset:1272
	s_waitcnt vmcnt(1)
	v_mul_f32_e32 v8, v3, v5
	global_load_dwordx2 v[0:1], v[0:1], off
	v_mul_f32_e32 v5, v2, v5
	v_fmac_f32_e32 v8, v2, v4
	v_fma_f32 v9, v3, v4, -v5
	ds_write_b64 v95, v[8:9] offset:4368
	s_waitcnt vmcnt(0)
	v_mul_f32_e32 v2, v1, v7
	v_mul_f32_e32 v3, v0, v7
	v_fmac_f32_e32 v2, v0, v6
	v_fma_f32 v3, v1, v6, -v3
	ds_write_b64 v95, v[2:3] offset:9464
.LBB0_3:
	s_or_b64 exec, exec, s[2:3]
	v_add_u32_e32 v4, 0x1200, v95
	s_waitcnt lgkmcnt(0)
	s_barrier
	ds_read2_b64 v[0:3], v95 offset1:182
	ds_read2_b64 v[4:7], v4 offset0:61 offset1:243
	ds_read_b64 v[8:9], v95 offset:2912
	ds_read_b64 v[12:13], v95 offset:8008
                                        ; implicit-def: $vgpr14
                                        ; implicit-def: $vgpr10
	s_and_saveexec_b64 s[2:3], s[0:1]
	s_cbranch_execz .LBB0_5
; %bb.4:
	ds_read_b64 v[10:11], v95 offset:4368
	ds_read_b64 v[14:15], v95 offset:9464
.LBB0_5:
	s_or_b64 exec, exec, s[2:3]
	s_load_dwordx2 s[4:5], s[4:5], 0x8
	s_waitcnt lgkmcnt(0)
	v_sub_f32_e32 v26, v0, v4
	v_add_co_u32_e32 v16, vcc, 0x222, v98
	v_sub_f32_e32 v27, v1, v5
	v_fma_f32 v24, v0, 2.0, -v26
	v_sub_f32_e32 v30, v2, v6
	v_sub_f32_e32 v31, v3, v7
	;; [unrolled: 1-line block ×6, first 2 shown]
	v_lshlrev_b16_e32 v0, 1, v98
	v_lshlrev_b32_e32 v58, 4, v98
	v_fma_f32 v25, v1, 2.0, -v27
	v_fma_f32 v28, v2, 2.0, -v30
	;; [unrolled: 1-line block ×7, first 2 shown]
	v_lshlrev_b32_e32 v101, 3, v0
	v_lshlrev_b32_e32 v100, 4, v16
	s_barrier
	ds_write_b128 v101, v[24:27]
	ds_write_b128 v58, v[28:31] offset:2912
	ds_write_b128 v58, v[32:35] offset:5824
	s_and_saveexec_b64 s[2:3], s[0:1]
	s_cbranch_execz .LBB0_7
; %bb.6:
	ds_write_b128 v100, v[36:39]
.LBB0_7:
	s_or_b64 exec, exec, s[2:3]
	s_movk_i32 s2, 0x62
	v_cmp_gt_u16_e64 s[2:3], s2, v98
	s_waitcnt lgkmcnt(0)
	s_barrier
	s_waitcnt lgkmcnt(0)
                                        ; implicit-def: $vgpr40
                                        ; implicit-def: $vgpr44
                                        ; implicit-def: $vgpr48
	s_and_saveexec_b64 s[14:15], s[2:3]
	s_cbranch_execz .LBB0_9
; %bb.8:
	v_add_u32_e32 v0, 0x400, v95
	ds_read2_b64 v[28:31], v0 offset0:68 offset1:166
	v_add_u32_e32 v0, 0x800, v95
	ds_read2_b64 v[32:35], v0 offset0:136 offset1:234
	;; [unrolled: 2-line block ×4, first 2 shown]
	v_add_u32_e32 v0, 0x1c00, v95
	ds_read2_b64 v[24:27], v95 offset1:98
	ds_read2_b64 v[44:47], v0 offset0:84 offset1:182
	ds_read_b64 v[48:49], v95 offset:9408
.LBB0_9:
	s_or_b64 exec, exec, s[14:15]
	v_and_b32_e32 v99, 1, v98
	v_mul_u32_u24_e32 v0, 12, v99
	v_lshlrev_b32_e32 v50, 3, v0
	global_load_dwordx4 v[12:15], v50, s[4:5]
	global_load_dwordx4 v[4:7], v50, s[4:5] offset:16
	global_load_dwordx4 v[0:3], v50, s[4:5] offset:32
	;; [unrolled: 1-line block ×5, first 2 shown]
	s_mov_b32 s15, 0x3f62ad3f
	s_mov_b32 s14, 0x3f116cb1
	;; [unrolled: 1-line block ×6, first 2 shown]
	s_waitcnt vmcnt(0) lgkmcnt(0)
	s_barrier
	v_mul_f32_e32 v87, v27, v13
	v_mul_f32_e32 v59, v32, v7
	v_mul_f32_e32 v50, v29, v15
	v_mul_f32_e32 v55, v39, v9
	v_mul_f32_e32 v52, v33, v7
	v_mul_f32_e32 v86, v49, v23
	v_mul_f32_e32 v61, v36, v3
	v_mul_f32_e32 v62, v38, v9
	v_mul_f32_e32 v85, v47, v21
	v_mul_f32_e32 v67, v48, v23
	v_mul_f32_e32 v68, v26, v13
	v_fmac_f32_e32 v59, v33, v6
	v_fma_f32 v33, v38, v8, -v55
	v_fma_f32 v38, v48, v22, -v86
	;; [unrolled: 1-line block ×3, first 2 shown]
	v_mul_f32_e32 v56, v28, v15
	v_mul_f32_e32 v51, v31, v5
	;; [unrolled: 1-line block ×7, first 2 shown]
	v_fma_f32 v28, v28, v14, -v50
	v_fmac_f32_e32 v61, v37, v2
	v_fma_f32 v37, v46, v20, -v85
	v_fmac_f32_e32 v67, v49, v22
	v_fmac_f32_e32 v68, v27, v12
	v_sub_f32_e32 v87, v26, v38
	v_mul_f32_e32 v57, v30, v5
	v_mul_f32_e32 v53, v35, v1
	;; [unrolled: 1-line block ×6, first 2 shown]
	v_fmac_f32_e32 v56, v29, v14
	v_fma_f32 v29, v30, v4, -v51
	v_fma_f32 v30, v32, v6, -v52
	v_fmac_f32_e32 v60, v35, v0
	v_fma_f32 v32, v36, v2, -v54
	v_fma_f32 v35, v42, v16, -v70
	;; [unrolled: 1-line block ×3, first 2 shown]
	v_fmac_f32_e32 v66, v47, v20
	v_add_f32_e32 v92, v68, v67
	v_sub_f32_e32 v88, v28, v37
	v_sub_f32_e32 v102, v68, v67
	v_mul_f32_e32 v42, 0xbeedf032, v87
	v_fmac_f32_e32 v57, v31, v4
	v_fma_f32 v31, v34, v0, -v53
	v_fma_f32 v34, v40, v10, -v69
	v_fmac_f32_e32 v63, v41, v10
	v_fmac_f32_e32 v65, v45, v18
	v_add_f32_e32 v90, v56, v66
	v_sub_f32_e32 v157, v56, v66
	v_sub_f32_e32 v159, v29, v36
	v_mul_f32_e32 v41, 0xbf52af12, v88
	v_mul_f32_e32 v40, 0xbeedf032, v102
	v_fma_f32 v44, v92, s15, -v42
	v_fmac_f32_e32 v62, v39, v8
	v_fmac_f32_e32 v64, v43, v16
	v_add_f32_e32 v93, v26, v38
	v_sub_f32_e32 v158, v57, v65
	v_add_f32_e32 v71, v57, v65
	v_mul_f32_e32 v39, 0xbf52af12, v157
	v_mul_f32_e32 v43, 0xbf7e222b, v159
	v_fma_f32 v45, v90, s14, -v41
	v_mov_b32_e32 v46, v40
	v_add_f32_e32 v44, v25, v44
	v_add_f32_e32 v91, v28, v37
	v_mul_f32_e32 v27, 0xbf7e222b, v158
	v_mov_b32_e32 v47, v39
	v_fma_f32 v49, v71, s16, -v43
	v_fmac_f32_e32 v46, 0x3f62ad3f, v93
	v_add_f32_e32 v44, v45, v44
	v_sub_f32_e32 v161, v59, v64
	v_add_f32_e32 v70, v29, v36
	v_mov_b32_e32 v48, v27
	v_fmac_f32_e32 v47, 0x3f116cb1, v91
	v_add_f32_e32 v45, v24, v46
	v_add_f32_e32 v46, v49, v44
	v_mul_f32_e32 v44, 0xbf6f5d39, v161
	v_fmac_f32_e32 v48, 0x3df6dbef, v70
	v_add_f32_e32 v45, v47, v45
	v_add_f32_e32 v106, v30, v35
	v_mov_b32_e32 v47, v44
	v_add_f32_e32 v45, v48, v45
	v_fmac_f32_e32 v47, 0xbeb58ec6, v106
	v_sub_f32_e32 v163, v30, v35
	v_add_f32_e32 v47, v47, v45
	v_add_f32_e32 v112, v59, v64
	v_mul_f32_e32 v45, 0xbf6f5d39, v163
	v_fma_f32 v48, v112, s18, -v45
	v_sub_f32_e32 v166, v60, v63
	v_add_f32_e32 v48, v48, v46
	v_mul_f32_e32 v46, 0xbf29c268, v166
	v_add_f32_e32 v116, v31, v34
	v_mov_b32_e32 v49, v46
	v_fmac_f32_e32 v49, 0xbf3f9e67, v116
	v_sub_f32_e32 v167, v31, v34
	v_add_f32_e32 v49, v49, v47
	v_add_f32_e32 v117, v60, v63
	v_mul_f32_e32 v47, 0xbf29c268, v167
	v_sub_f32_e32 v168, v61, v62
	v_fma_f32 v50, v117, s19, -v47
	v_mul_f32_e32 v69, 0xbe750f2a, v168
	v_add_f32_e32 v48, v50, v48
	v_add_f32_e32 v124, v32, v33
	v_mov_b32_e32 v50, v69
	v_sub_f32_e32 v169, v32, v33
	v_fmac_f32_e32 v50, 0xbf788fa5, v124
	v_add_f32_e32 v125, v61, v62
	v_mul_f32_e32 v89, 0xbe750f2a, v169
	v_add_f32_e32 v85, v50, v49
	v_fma_f32 v49, v125, s20, -v89
	v_mul_f32_e32 v94, 0xbf52af12, v102
	v_add_f32_e32 v86, v49, v48
	v_mov_b32_e32 v48, v94
	v_mul_f32_e32 v103, 0xbf6f5d39, v157
	v_fmac_f32_e32 v48, 0x3f116cb1, v93
	v_mov_b32_e32 v49, v103
	v_add_f32_e32 v48, v24, v48
	v_fmac_f32_e32 v49, 0xbeb58ec6, v91
	v_mul_f32_e32 v107, 0xbf52af12, v87
	v_add_f32_e32 v48, v49, v48
	v_fma_f32 v49, v92, s14, -v107
	v_mul_f32_e32 v109, 0xbf6f5d39, v88
	v_add_f32_e32 v49, v25, v49
	v_fma_f32 v50, v90, s18, -v109
	v_mul_f32_e32 v104, 0xbe750f2a, v158
	v_add_f32_e32 v49, v50, v49
	v_mov_b32_e32 v50, v104
	v_fmac_f32_e32 v50, 0xbf788fa5, v70
	v_mul_f32_e32 v111, 0xbe750f2a, v159
	v_add_f32_e32 v48, v50, v48
	v_fma_f32 v50, v71, s20, -v111
	v_mul_f32_e32 v105, 0x3f29c268, v161
	v_add_f32_e32 v49, v50, v49
	v_mov_b32_e32 v50, v105
	v_fmac_f32_e32 v50, 0xbf3f9e67, v106
	;; [unrolled: 7-line block ×4, first 2 shown]
	v_mul_f32_e32 v115, 0x3eedf032, v169
	v_mul_f32_e32 v118, 0xbf7e222b, v102
	v_fma_f32 v51, v125, s15, -v115
	v_add_f32_e32 v50, v50, v48
	v_mov_b32_e32 v48, v118
	v_mul_f32_e32 v119, 0xbe750f2a, v157
	v_add_f32_e32 v51, v51, v49
	v_fmac_f32_e32 v48, 0x3df6dbef, v93
	v_mov_b32_e32 v49, v119
	v_add_f32_e32 v48, v24, v48
	v_fmac_f32_e32 v49, 0xbf788fa5, v91
	v_mul_f32_e32 v120, 0x3f6f5d39, v158
	v_add_f32_e32 v48, v49, v48
	v_mov_b32_e32 v49, v120
	v_fmac_f32_e32 v49, 0xbeb58ec6, v70
	v_mul_f32_e32 v121, 0x3eedf032, v161
	v_add_f32_e32 v48, v49, v48
	v_mov_b32_e32 v49, v121
	;; [unrolled: 4-line block ×4, first 2 shown]
	v_fmac_f32_e32 v49, 0xbf3f9e67, v124
	v_mul_f32_e32 v126, 0xbf7e222b, v87
	v_add_f32_e32 v48, v49, v48
	v_fma_f32 v49, v92, s16, -v126
	v_mul_f32_e32 v127, 0xbe750f2a, v88
	v_add_f32_e32 v49, v25, v49
	v_fma_f32 v52, v90, s20, -v127
	;; [unrolled: 3-line block ×6, first 2 shown]
	v_mul_f32_e32 v132, 0xbf6f5d39, v102
	v_add_f32_e32 v49, v52, v49
	v_mov_b32_e32 v52, v132
	v_mul_f32_e32 v133, 0x3f29c268, v157
	v_fmac_f32_e32 v52, 0xbeb58ec6, v93
	v_mov_b32_e32 v53, v133
	v_add_f32_e32 v52, v24, v52
	v_fmac_f32_e32 v53, 0xbf3f9e67, v91
	v_mul_f32_e32 v136, 0xbf6f5d39, v87
	v_add_f32_e32 v52, v53, v52
	v_fma_f32 v53, v92, s18, -v136
	v_mul_f32_e32 v138, 0x3f29c268, v88
	v_add_f32_e32 v53, v25, v53
	v_fma_f32 v54, v90, s19, -v138
	v_mul_f32_e32 v134, 0x3eedf032, v158
	v_add_f32_e32 v53, v54, v53
	v_mov_b32_e32 v54, v134
	v_fmac_f32_e32 v54, 0x3f62ad3f, v70
	v_mul_f32_e32 v140, 0x3eedf032, v159
	v_add_f32_e32 v52, v54, v52
	v_fma_f32 v54, v71, s15, -v140
	v_mul_f32_e32 v135, 0xbf7e222b, v161
	v_add_f32_e32 v53, v54, v53
	v_mov_b32_e32 v54, v135
	v_fmac_f32_e32 v54, 0x3df6dbef, v106
	;; [unrolled: 7-line block ×4, first 2 shown]
	v_mul_f32_e32 v143, 0x3f52af12, v169
	v_mul_f32_e32 v144, 0xbf29c268, v102
	v_fma_f32 v55, v125, s14, -v143
	v_add_f32_e32 v54, v54, v52
	v_mov_b32_e32 v52, v144
	v_mul_f32_e32 v145, 0x3f7e222b, v157
	v_add_f32_e32 v55, v55, v53
	v_fmac_f32_e32 v52, 0xbf3f9e67, v93
	v_mov_b32_e32 v53, v145
	v_add_f32_e32 v52, v24, v52
	v_fmac_f32_e32 v53, 0x3df6dbef, v91
	v_mul_f32_e32 v146, 0xbf52af12, v158
	v_add_f32_e32 v52, v53, v52
	v_mov_b32_e32 v53, v146
	v_fmac_f32_e32 v53, 0x3f116cb1, v70
	v_mul_f32_e32 v147, 0x3e750f2a, v161
	v_add_f32_e32 v52, v53, v52
	v_mov_b32_e32 v53, v147
	;; [unrolled: 4-line block ×4, first 2 shown]
	v_fmac_f32_e32 v53, 0xbeb58ec6, v124
	v_mul_f32_e32 v150, 0xbf29c268, v87
	v_add_f32_e32 v52, v53, v52
	v_fma_f32 v53, v92, s19, -v150
	v_mul_f32_e32 v151, 0x3f7e222b, v88
	v_add_f32_e32 v53, v25, v53
	v_fma_f32 v152, v90, s16, -v151
	v_add_f32_e32 v53, v152, v53
	v_mul_f32_e32 v152, 0xbf52af12, v159
	v_fma_f32 v153, v71, s14, -v152
	v_add_f32_e32 v53, v153, v53
	v_mul_f32_e32 v153, 0x3e750f2a, v163
	;; [unrolled: 3-line block ×5, first 2 shown]
	v_mov_b32_e32 v102, v156
	v_mul_f32_e32 v157, 0x3eedf032, v157
	v_fmac_f32_e32 v102, 0xbf788fa5, v93
	v_mov_b32_e32 v160, v157
	v_add_f32_e32 v102, v24, v102
	v_fmac_f32_e32 v160, 0x3f62ad3f, v91
	v_add_f32_e32 v102, v160, v102
	v_mul_f32_e32 v160, 0xbe750f2a, v87
	v_fma_f32 v87, v92, s20, -v160
	v_mul_f32_e32 v162, 0x3eedf032, v88
	v_add_f32_e32 v87, v25, v87
	v_fma_f32 v88, v90, s15, -v162
	v_mul_f32_e32 v158, 0xbf29c268, v158
	v_add_f32_e32 v87, v88, v87
	v_mov_b32_e32 v88, v158
	v_fmac_f32_e32 v88, 0xbf3f9e67, v70
	v_mul_f32_e32 v164, 0xbf29c268, v159
	v_add_f32_e32 v88, v88, v102
	v_fma_f32 v102, v71, s19, -v164
	v_mul_f32_e32 v159, 0x3f52af12, v161
	v_add_f32_e32 v87, v102, v87
	v_mov_b32_e32 v102, v159
	v_fmac_f32_e32 v102, 0x3f116cb1, v106
	;; [unrolled: 7-line block ×3, first 2 shown]
	v_mul_f32_e32 v166, 0xbf6f5d39, v167
	v_add_f32_e32 v88, v102, v88
	v_fma_f32 v102, v117, s18, -v166
	v_mul_f32_e32 v163, 0x3f7e222b, v168
	v_add_f32_e32 v102, v102, v87
	v_mov_b32_e32 v87, v163
	v_mul_f32_e32 v167, 0x3f7e222b, v169
	v_fmac_f32_e32 v87, 0x3df6dbef, v124
	v_add_f32_e32 v87, v87, v88
	v_fma_f32 v88, v125, s16, -v167
	v_add_f32_e32 v88, v88, v102
	v_lshrrev_b32_e32 v102, 1, v98
	s_and_saveexec_b64 s[14:15], s[2:3]
	s_cbranch_execz .LBB0_11
; %bb.10:
	v_mul_f32_e32 v169, 0x3f62ad3f, v92
	v_mul_f32_e32 v171, 0x3f116cb1, v92
	v_mul_f32_e32 v173, 0x3df6dbef, v92
	v_mul_f32_e32 v175, 0xbeb58ec6, v92
	v_mul_f32_e32 v177, 0xbf3f9e67, v92
	v_mul_f32_e32 v92, 0xbf788fa5, v92
	v_mul_f32_e32 v179, 0x3f116cb1, v90
	v_mul_f32_e32 v181, 0xbeb58ec6, v90
	v_mul_f32_e32 v183, 0xbf788fa5, v90
	v_mul_f32_e32 v185, 0xbf3f9e67, v90
	v_mul_f32_e32 v187, 0x3df6dbef, v90
	v_mul_f32_e32 v90, 0x3f62ad3f, v90
	v_add_f32_e32 v92, v160, v92
	v_mul_f32_e32 v189, 0x3df6dbef, v71
	v_mul_f32_e32 v191, 0xbf788fa5, v71
	v_mul_f32_e32 v193, 0xbeb58ec6, v71
	v_mul_f32_e32 v195, 0x3f62ad3f, v71
	v_mul_f32_e32 v197, 0x3f116cb1, v71
	v_mul_f32_e32 v71, 0xbf3f9e67, v71
	v_add_f32_e32 v92, v25, v92
	v_add_f32_e32 v90, v162, v90
	v_mul_f32_e32 v199, 0xbeb58ec6, v112
	v_mul_f32_e32 v201, 0xbf3f9e67, v112
	v_mul_f32_e32 v203, 0x3f62ad3f, v112
	v_mul_f32_e32 v205, 0x3df6dbef, v112
	v_mul_f32_e32 v207, 0xbf788fa5, v112
	v_mul_f32_e32 v112, 0x3f116cb1, v112
	v_add_f32_e32 v90, v90, v92
	;; [unrolled: 8-line block ×6, first 2 shown]
	v_sub_f32_e32 v90, v93, v156
	v_mul_f32_e32 v188, 0x3df6dbef, v70
	v_mul_f32_e32 v190, 0xbf788fa5, v70
	v_mul_f32_e32 v192, 0xbeb58ec6, v70
	v_mul_f32_e32 v194, 0x3f62ad3f, v70
	v_mul_f32_e32 v196, 0x3f116cb1, v70
	v_mul_f32_e32 v70, 0xbf3f9e67, v70
	v_add_f32_e32 v90, v24, v90
	v_sub_f32_e32 v91, v91, v157
	v_mul_f32_e32 v198, 0xbeb58ec6, v106
	v_mul_f32_e32 v200, 0xbf3f9e67, v106
	v_mul_f32_e32 v202, 0x3f62ad3f, v106
	v_mul_f32_e32 v204, 0x3df6dbef, v106
	v_mul_f32_e32 v206, 0xbf788fa5, v106
	v_mul_f32_e32 v106, 0x3f116cb1, v106
	v_add_f32_e32 v90, v91, v90
	;; [unrolled: 8-line block ×4, first 2 shown]
	v_sub_f32_e32 v90, v116, v161
	v_add_f32_e32 v70, v90, v70
	v_sub_f32_e32 v90, v124, v163
	v_add_f32_e32 v70, v90, v70
	v_add_f32_e32 v90, v150, v177
	v_add_f32_e32 v90, v25, v90
	v_add_f32_e32 v91, v151, v187
	v_add_f32_e32 v90, v91, v90
	v_add_f32_e32 v91, v152, v197
	v_add_f32_e32 v90, v91, v90
	v_add_f32_e32 v91, v153, v207
	v_add_f32_e32 v90, v91, v90
	v_add_f32_e32 v91, v154, v217
	v_add_f32_e32 v90, v91, v90
	v_add_f32_e32 v91, v155, v227
	v_add_f32_e32 v91, v91, v90
	v_sub_f32_e32 v90, v176, v144
	v_add_f32_e32 v90, v24, v90
	v_sub_f32_e32 v92, v186, v145
	v_add_f32_e32 v90, v92, v90
	v_sub_f32_e32 v92, v196, v146
	v_add_f32_e32 v90, v92, v90
	v_sub_f32_e32 v92, v206, v147
	v_add_f32_e32 v90, v92, v90
	v_sub_f32_e32 v92, v216, v148
	v_add_f32_e32 v90, v92, v90
	v_sub_f32_e32 v92, v226, v149
	v_add_f32_e32 v90, v92, v90
	v_add_f32_e32 v92, v136, v175
	v_add_f32_e32 v92, v25, v92
	v_add_f32_e32 v93, v138, v185
	v_add_f32_e32 v92, v93, v92
	v_add_f32_e32 v93, v140, v195
	v_add_f32_e32 v92, v93, v92
	v_add_f32_e32 v93, v141, v205
	v_add_f32_e32 v92, v93, v92
	v_add_f32_e32 v93, v142, v215
	v_add_f32_e32 v92, v93, v92
	v_add_f32_e32 v93, v143, v225
	v_add_f32_e32 v93, v93, v92
	v_sub_f32_e32 v92, v174, v132
	v_add_f32_e32 v92, v24, v92
	v_sub_f32_e32 v106, v184, v133
	v_add_f32_e32 v92, v106, v92
	v_sub_f32_e32 v106, v194, v134
	v_add_f32_e32 v92, v106, v92
	v_sub_f32_e32 v106, v204, v135
	v_add_f32_e32 v92, v106, v92
	;; [unrolled: 24-line block ×3, first 2 shown]
	v_sub_f32_e32 v112, v212, v122
	v_add_f32_e32 v106, v112, v106
	v_sub_f32_e32 v112, v222, v123
	v_add_f32_e32 v116, v112, v106
	v_add_f32_e32 v106, v107, v171
	v_sub_f32_e32 v94, v170, v94
	v_add_f32_e32 v42, v42, v169
	v_sub_f32_e32 v40, v168, v40
	v_add_f32_e32 v106, v25, v106
	v_add_f32_e32 v94, v24, v94
	;; [unrolled: 1-line block ×17, first 2 shown]
	v_sub_f32_e32 v39, v178, v39
	v_add_f32_e32 v25, v25, v62
	v_add_f32_e32 v24, v24, v33
	v_add_f32_e32 v107, v109, v181
	v_sub_f32_e32 v103, v180, v103
	v_add_f32_e32 v41, v41, v42
	v_add_f32_e32 v42, v43, v189
	v_add_f32_e32 v39, v39, v40
	;; [unrolled: 4-line block ×3, first 2 shown]
	v_add_f32_e32 v107, v111, v191
	v_add_f32_e32 v94, v103, v94
	v_sub_f32_e32 v103, v190, v104
	v_add_f32_e32 v41, v42, v41
	v_add_f32_e32 v42, v45, v199
	;; [unrolled: 1-line block ×3, first 2 shown]
	v_sub_f32_e32 v39, v198, v44
	v_add_f32_e32 v25, v25, v64
	v_add_f32_e32 v24, v24, v35
	;; [unrolled: 1-line block ×5, first 2 shown]
	v_sub_f32_e32 v103, v200, v105
	v_add_f32_e32 v41, v42, v41
	v_add_f32_e32 v42, v47, v209
	;; [unrolled: 1-line block ×3, first 2 shown]
	v_sub_f32_e32 v39, v208, v46
	v_add_f32_e32 v25, v25, v65
	v_add_f32_e32 v24, v24, v36
	v_mul_u32_u24_e32 v26, 26, v102
	v_add_f32_e32 v106, v107, v106
	v_add_f32_e32 v107, v114, v211
	;; [unrolled: 1-line block ×3, first 2 shown]
	v_sub_f32_e32 v103, v210, v108
	v_add_f32_e32 v41, v42, v41
	v_add_f32_e32 v42, v89, v219
	;; [unrolled: 1-line block ×3, first 2 shown]
	v_sub_f32_e32 v39, v218, v69
	v_add_f32_e32 v25, v25, v66
	v_add_f32_e32 v24, v24, v37
	v_or_b32_e32 v26, v26, v99
	v_add_f32_e32 v106, v107, v106
	v_add_f32_e32 v107, v115, v221
	;; [unrolled: 1-line block ×3, first 2 shown]
	v_sub_f32_e32 v103, v220, v110
	v_add_f32_e32 v41, v42, v41
	v_add_f32_e32 v40, v39, v27
	v_add_f32_e32 v25, v25, v67
	v_add_f32_e32 v24, v24, v38
	v_lshlrev_b32_e32 v26, 3, v26
	v_add_f32_e32 v106, v107, v106
	v_add_f32_e32 v105, v103, v94
	ds_write2_b64 v26, v[24:25], v[40:41] offset1:2
	ds_write2_b64 v26, v[105:106], v[116:117] offset0:4 offset1:6
	ds_write2_b64 v26, v[92:93], v[90:91] offset0:8 offset1:10
	;; [unrolled: 1-line block ×5, first 2 shown]
	ds_write_b64 v26, v[85:86] offset:192
.LBB0_11:
	s_or_b64 exec, exec, s[14:15]
	s_movk_i32 s14, 0x4f
	v_mul_lo_u16_sdwa v24, v98, s14 dst_sel:DWORD dst_unused:UNUSED_PAD src0_sel:BYTE_0 src1_sel:DWORD
	v_lshrrev_b16_e32 v59, 11, v24
	v_mul_lo_u16_e32 v24, 26, v59
	v_sub_u16_e32 v24, v98, v24
	v_and_b32_e32 v60, 0xff, v24
	v_mad_u64_u32 v[36:37], s[14:15], v60, 48, s[4:5]
	s_waitcnt lgkmcnt(0)
	s_barrier
	global_load_dwordx4 v[32:35], v[36:37], off offset:192
	global_load_dwordx4 v[28:31], v[36:37], off offset:208
	;; [unrolled: 1-line block ×3, first 2 shown]
	v_add_u32_e32 v71, 0xa00, v95
	v_add_u32_e32 v91, 0x1600, v95
	ds_read2_b64 v[36:39], v95 offset1:182
	ds_read_b64 v[56:57], v95 offset:8736
	ds_read2_b64 v[40:43], v71 offset0:44 offset1:226
	ds_read2_b64 v[44:47], v91 offset0:24 offset1:206
	s_mov_b32 s15, 0x3f3bfb3b
	s_mov_b32 s16, 0xbf3bfb3b
	;; [unrolled: 1-line block ×4, first 2 shown]
	v_mul_u32_u24_e32 v59, 0xb6, v59
	v_add_lshl_u32 v103, v59, v60, 3
	s_waitcnt vmcnt(0) lgkmcnt(0)
	s_barrier
	v_mul_f32_e32 v61, v39, v33
	v_mul_f32_e32 v62, v38, v33
	;; [unrolled: 1-line block ×12, first 2 shown]
	v_fma_f32 v38, v38, v32, -v61
	v_fmac_f32_e32 v62, v39, v32
	v_fma_f32 v39, v40, v34, -v63
	v_fmac_f32_e32 v64, v41, v34
	;; [unrolled: 2-line block ×6, first 2 shown]
	v_add_f32_e32 v44, v38, v43
	v_add_f32_e32 v45, v62, v90
	;; [unrolled: 1-line block ×4, first 2 shown]
	v_sub_f32_e32 v38, v38, v43
	v_sub_f32_e32 v43, v62, v90
	v_add_f32_e32 v56, v40, v41
	v_add_f32_e32 v57, v66, v68
	;; [unrolled: 1-line block ×4, first 2 shown]
	v_sub_f32_e32 v39, v39, v42
	v_sub_f32_e32 v42, v64, v70
	;; [unrolled: 1-line block ×10, first 2 shown]
	v_add_f32_e32 v56, v56, v61
	v_add_f32_e32 v57, v57, v62
	;; [unrolled: 1-line block ×4, first 2 shown]
	v_sub_f32_e32 v67, v40, v39
	v_sub_f32_e32 v68, v41, v42
	;; [unrolled: 1-line block ×3, first 2 shown]
	v_mul_f32_e32 v44, 0x3f4a47b2, v44
	v_mul_f32_e32 v45, 0x3f4a47b2, v45
	;; [unrolled: 1-line block ×4, first 2 shown]
	v_add_f32_e32 v36, v36, v56
	v_add_f32_e32 v37, v37, v57
	v_sub_f32_e32 v40, v38, v40
	v_sub_f32_e32 v41, v43, v41
	;; [unrolled: 1-line block ×3, first 2 shown]
	v_add_f32_e32 v38, v65, v38
	v_add_f32_e32 v43, v66, v43
	v_mul_f32_e32 v65, 0xbf08b237, v67
	v_mul_f32_e32 v66, 0xbf08b237, v68
	;; [unrolled: 1-line block ×3, first 2 shown]
	v_fma_f32 v61, v63, s15, -v61
	v_fma_f32 v62, v64, s15, -v62
	v_fma_f32 v63, v63, s16, -v44
	v_fmac_f32_e32 v44, 0x3d64c772, v46
	v_fma_f32 v46, v64, s16, -v45
	v_mov_b32_e32 v64, v36
	v_mov_b32_e32 v69, v37
	v_mul_f32_e32 v68, 0x3f5ff5aa, v42
	v_fmac_f32_e32 v64, 0xbf955555, v56
	v_fmac_f32_e32 v69, 0xbf955555, v57
	;; [unrolled: 1-line block ×3, first 2 shown]
	v_fma_f32 v47, v39, s14, -v65
	v_fmac_f32_e32 v65, 0x3eae86e6, v40
	v_fma_f32 v56, v42, s14, -v66
	v_fmac_f32_e32 v66, 0x3eae86e6, v41
	v_fma_f32 v57, v40, s18, -v67
	v_fma_f32 v67, v41, s18, -v68
	v_add_f32_e32 v68, v44, v64
	v_add_f32_e32 v70, v45, v69
	;; [unrolled: 1-line block ×5, first 2 shown]
	v_fmac_f32_e32 v65, 0x3ee1c552, v38
	v_fmac_f32_e32 v66, 0x3ee1c552, v43
	;; [unrolled: 1-line block ×5, first 2 shown]
	v_add_f32_e32 v61, v63, v64
	v_fmac_f32_e32 v67, 0x3ee1c552, v43
	v_add_f32_e32 v38, v66, v68
	v_sub_f32_e32 v39, v70, v65
	v_sub_f32_e32 v41, v62, v57
	;; [unrolled: 1-line block ×3, first 2 shown]
	v_add_f32_e32 v43, v47, v45
	v_add_f32_e32 v44, v56, v44
	v_sub_f32_e32 v45, v45, v47
	v_add_f32_e32 v47, v57, v62
	v_sub_f32_e32 v56, v68, v66
	v_add_f32_e32 v57, v65, v70
	v_add_f32_e32 v40, v67, v61
	v_sub_f32_e32 v46, v61, v67
	ds_write2_b64 v103, v[36:37], v[38:39] offset1:26
	ds_write2_b64 v103, v[40:41], v[42:43] offset0:52 offset1:78
	ds_write2_b64 v103, v[44:45], v[46:47] offset0:104 offset1:130
	ds_write_b64 v103, v[56:57] offset:1248
	v_mad_u64_u32 v[56:57], s[4:5], v98, 48, s[4:5]
	s_waitcnt lgkmcnt(0)
	s_barrier
	global_load_dwordx4 v[44:47], v[56:57], off offset:1440
	global_load_dwordx4 v[40:43], v[56:57], off offset:1456
	global_load_dwordx4 v[36:39], v[56:57], off offset:1472
	v_mov_b32_e32 v56, s17
	ds_read2_b64 v[59:62], v95 offset1:182
	v_addc_co_u32_e64 v92, vcc, 0, v56, s[6:7]
	ds_read2_b64 v[63:66], v71 offset0:44 offset1:226
	ds_read2_b64 v[67:70], v91 offset0:24 offset1:206
	ds_read_b64 v[56:57], v95 offset:8736
	s_movk_i32 s4, 0x2000
	s_movk_i32 s5, 0x3000
	s_waitcnt vmcnt(2) lgkmcnt(3)
	v_mul_f32_e32 v89, v62, v45
	v_mul_f32_e32 v90, v61, v45
	s_waitcnt lgkmcnt(2)
	v_mul_f32_e32 v93, v64, v47
	s_waitcnt vmcnt(1)
	v_mul_f32_e32 v104, v66, v41
	s_waitcnt vmcnt(0) lgkmcnt(1)
	v_mul_f32_e32 v108, v70, v37
	s_waitcnt lgkmcnt(0)
	v_mul_f32_e32 v110, v57, v39
	v_mul_f32_e32 v94, v63, v47
	;; [unrolled: 1-line block ×6, first 2 shown]
	v_fma_f32 v61, v61, v44, -v89
	v_fmac_f32_e32 v90, v62, v44
	v_fma_f32 v62, v63, v46, -v93
	v_fma_f32 v63, v65, v40, -v104
	v_fma_f32 v65, v69, v36, -v108
	v_fma_f32 v56, v56, v38, -v110
	v_mul_f32_e32 v107, v67, v43
	v_fmac_f32_e32 v94, v64, v46
	v_fma_f32 v64, v67, v42, -v106
	v_fmac_f32_e32 v109, v70, v36
	v_fmac_f32_e32 v111, v57, v38
	v_add_f32_e32 v57, v61, v56
	v_add_f32_e32 v67, v62, v65
	v_fmac_f32_e32 v105, v66, v40
	v_fmac_f32_e32 v107, v68, v42
	v_add_f32_e32 v66, v90, v111
	v_add_f32_e32 v68, v94, v109
	v_sub_f32_e32 v62, v62, v65
	v_add_f32_e32 v69, v63, v64
	v_sub_f32_e32 v63, v64, v63
	;; [unrolled: 2-line block ×3, first 2 shown]
	v_sub_f32_e32 v61, v90, v111
	v_add_f32_e32 v70, v105, v107
	v_add_f32_e32 v90, v68, v66
	v_sub_f32_e32 v93, v67, v57
	v_sub_f32_e32 v104, v57, v69
	;; [unrolled: 1-line block ×3, first 2 shown]
	v_add_f32_e32 v57, v63, v62
	v_add_f32_e32 v69, v69, v89
	v_sub_f32_e32 v65, v94, v109
	v_sub_f32_e32 v64, v107, v105
	;; [unrolled: 1-line block ×8, first 2 shown]
	v_add_f32_e32 v70, v70, v90
	v_add_f32_e32 v89, v57, v56
	;; [unrolled: 1-line block ×4, first 2 shown]
	v_sub_f32_e32 v107, v64, v65
	v_add_f32_e32 v57, v60, v70
	v_mov_b32_e32 v108, v56
	v_sub_f32_e32 v64, v61, v64
	v_sub_f32_e32 v65, v65, v61
	v_add_f32_e32 v61, v105, v61
	v_mul_f32_e32 v59, 0x3f4a47b2, v104
	v_mul_f32_e32 v60, 0x3f4a47b2, v66
	v_mul_f32_e32 v90, 0x3d64c772, v68
	v_mul_f32_e32 v104, 0xbf08b237, v106
	v_mul_f32_e32 v105, 0xbf08b237, v107
	v_fmac_f32_e32 v108, 0xbf955555, v69
	v_mov_b32_e32 v69, v57
	v_mul_f32_e32 v66, 0x3d64c772, v67
	v_mul_f32_e32 v106, 0x3f5ff5aa, v62
	;; [unrolled: 1-line block ×3, first 2 shown]
	v_fmac_f32_e32 v69, 0xbf955555, v70
	v_fma_f32 v70, v94, s15, -v90
	v_fma_f32 v90, v93, s16, -v59
	v_fmac_f32_e32 v59, 0x3d64c772, v67
	v_fma_f32 v67, v94, s16, -v60
	v_fmac_f32_e32 v60, 0x3d64c772, v68
	;; [unrolled: 2-line block ×4, first 2 shown]
	v_fma_f32 v66, v93, s15, -v66
	v_fma_f32 v93, v63, s18, -v106
	;; [unrolled: 1-line block ×3, first 2 shown]
	v_add_f32_e32 v106, v59, v108
	v_add_f32_e32 v107, v60, v69
	v_fmac_f32_e32 v104, 0x3ee1c552, v89
	v_fmac_f32_e32 v105, 0x3ee1c552, v61
	v_add_f32_e32 v66, v66, v108
	v_add_f32_e32 v70, v70, v69
	;; [unrolled: 1-line block ×4, first 2 shown]
	v_fmac_f32_e32 v68, 0x3ee1c552, v89
	v_fmac_f32_e32 v65, 0x3ee1c552, v61
	;; [unrolled: 1-line block ×4, first 2 shown]
	v_add_f32_e32 v59, v105, v106
	v_sub_f32_e32 v60, v107, v104
	v_add_f32_e32 v61, v94, v90
	v_sub_f32_e32 v62, v69, v93
	v_sub_f32_e32 v63, v66, v65
	v_add_f32_e32 v64, v68, v70
	v_add_f32_e32 v65, v65, v66
	v_sub_f32_e32 v66, v70, v68
	v_sub_f32_e32 v67, v90, v94
	v_add_f32_e32 v68, v93, v69
	v_sub_f32_e32 v89, v106, v105
	v_add_f32_e32 v90, v104, v107
	ds_write2_b64 v95, v[56:57], v[59:60] offset1:182
	ds_write2_b64 v71, v[61:62], v[63:64] offset0:44 offset1:226
	ds_write2_b64 v91, v[65:66], v[67:68] offset0:24 offset1:206
	ds_write_b64 v95, v[89:90] offset:8736
	v_add_co_u32_e32 v56, vcc, s4, v96
	v_addc_co_u32_e32 v57, vcc, 0, v92, vcc
	s_waitcnt lgkmcnt(0)
	s_barrier
	global_load_dwordx2 v[63:64], v[56:57], off offset:2000
	v_add_co_u32_e32 v56, vcc, s5, v96
	s_movk_i32 s4, 0x27d0
	v_addc_co_u32_e32 v57, vcc, 0, v92, vcc
	global_load_dwordx2 v[67:68], v[56:57], off offset:3000
	v_add_co_u32_e32 v56, vcc, s4, v96
	v_addc_co_u32_e32 v57, vcc, 0, v92, vcc
	global_load_dwordx2 v[69:70], v[56:57], off offset:1456
	s_movk_i32 s4, 0x4000
	v_add_co_u32_e32 v59, vcc, s4, v96
	v_addc_co_u32_e32 v60, vcc, 0, v92, vcc
	global_load_dwordx2 v[91:92], v[59:60], off offset:360
	global_load_dwordx2 v[93:94], v[56:57], off offset:2912
	;; [unrolled: 1-line block ×3, first 2 shown]
	ds_read2_b64 v[59:62], v95 offset1:182
	s_waitcnt vmcnt(5) lgkmcnt(0)
	v_mul_f32_e32 v65, v60, v64
	v_mul_f32_e32 v66, v59, v64
	v_fma_f32 v65, v59, v63, -v65
	v_fmac_f32_e32 v66, v60, v63
	ds_write_b64 v95, v[65:66]
	v_add_u32_e32 v59, 0x1200, v95
	ds_read2_b64 v[63:66], v59 offset0:61 offset1:243
	s_waitcnt vmcnt(4) lgkmcnt(0)
	v_mul_f32_e32 v60, v64, v68
	v_fma_f32 v106, v63, v67, -v60
	s_waitcnt vmcnt(3)
	v_mul_f32_e32 v60, v62, v70
	v_mul_f32_e32 v107, v63, v68
	v_fma_f32 v60, v61, v69, -v60
	v_mul_f32_e32 v61, v61, v70
	v_fmac_f32_e32 v107, v64, v67
	v_fmac_f32_e32 v61, v62, v69
	s_waitcnt vmcnt(2)
	v_mul_f32_e32 v62, v66, v92
	ds_read_b64 v[67:68], v95 offset:2912
	v_mul_f32_e32 v63, v65, v92
	v_fma_f32 v62, v65, v91, -v62
	v_fmac_f32_e32 v63, v66, v91
	ds_write2_b64 v59, v[106:107], v[62:63] offset0:61 offset1:243
	ds_read_b64 v[62:63], v95 offset:8008
	s_waitcnt vmcnt(1) lgkmcnt(2)
	v_mul_f32_e32 v64, v68, v94
	v_mul_f32_e32 v65, v67, v94
	v_fma_f32 v64, v67, v93, -v64
	v_fmac_f32_e32 v65, v68, v93
	v_add_u32_e32 v66, 0x400, v95
	ds_write2_b64 v66, v[60:61], v[64:65] offset0:54 offset1:236
	s_waitcnt vmcnt(0) lgkmcnt(1)
	v_mul_f32_e32 v60, v63, v105
	v_mul_f32_e32 v61, v62, v105
	v_fma_f32 v60, v62, v104, -v60
	v_fmac_f32_e32 v61, v63, v104
	ds_write_b64 v95, v[60:61] offset:8008
	s_and_saveexec_b64 s[4:5], s[0:1]
	s_cbranch_execz .LBB0_13
; %bb.12:
	v_add_co_u32_e32 v60, vcc, 0x1000, v56
	v_addc_co_u32_e32 v61, vcc, 0, v57, vcc
	v_add_co_u32_e32 v56, vcc, 0x2000, v56
	global_load_dwordx2 v[60:61], v[60:61], off offset:272
	v_addc_co_u32_e32 v57, vcc, 0, v57, vcc
	global_load_dwordx2 v[56:57], v[56:57], off offset:1272
	ds_read_b64 v[62:63], v95 offset:4368
	ds_read_b64 v[64:65], v95 offset:9464
	s_waitcnt vmcnt(1) lgkmcnt(1)
	v_mul_f32_e32 v66, v63, v61
	v_mul_f32_e32 v67, v62, v61
	v_fma_f32 v66, v62, v60, -v66
	v_fmac_f32_e32 v67, v63, v60
	s_waitcnt vmcnt(0) lgkmcnt(0)
	v_mul_f32_e32 v60, v65, v57
	v_mul_f32_e32 v61, v64, v57
	v_fma_f32 v60, v64, v56, -v60
	v_fmac_f32_e32 v61, v65, v56
	ds_write_b64 v95, v[66:67] offset:4368
	ds_write_b64 v95, v[60:61] offset:9464
.LBB0_13:
	s_or_b64 exec, exec, s[4:5]
	s_waitcnt lgkmcnt(0)
	s_barrier
	ds_read2_b64 v[60:63], v95 offset1:182
	ds_read2_b64 v[64:67], v59 offset0:61 offset1:243
	ds_read_b64 v[91:92], v95 offset:2912
	ds_read_b64 v[93:94], v95 offset:8008
	v_add_u32_e32 v105, 0xb60, v58
	v_add_u32_e32 v104, 0x16c0, v58
	s_and_saveexec_b64 s[4:5], s[0:1]
	s_cbranch_execz .LBB0_15
; %bb.14:
	ds_read_b64 v[89:90], v95 offset:4368
	ds_read_b64 v[87:88], v95 offset:9464
.LBB0_15:
	s_or_b64 exec, exec, s[4:5]
	s_waitcnt lgkmcnt(2)
	v_sub_f32_e32 v70, v62, v66
	v_sub_f32_e32 v71, v63, v67
	;; [unrolled: 1-line block ×4, first 2 shown]
	v_fma_f32 v68, v62, 2.0, -v70
	v_fma_f32 v69, v63, 2.0, -v71
	s_waitcnt lgkmcnt(0)
	v_sub_f32_e32 v66, v91, v93
	v_sub_f32_e32 v67, v92, v94
	;; [unrolled: 1-line block ×4, first 2 shown]
	v_fma_f32 v56, v60, 2.0, -v58
	v_fma_f32 v57, v61, 2.0, -v59
	;; [unrolled: 1-line block ×6, first 2 shown]
	s_barrier
	ds_write_b128 v101, v[56:59]
	ds_write_b128 v105, v[68:71]
	;; [unrolled: 1-line block ×3, first 2 shown]
	s_and_saveexec_b64 s[4:5], s[0:1]
	s_cbranch_execz .LBB0_17
; %bb.16:
	ds_write_b128 v100, v[60:63]
.LBB0_17:
	s_or_b64 exec, exec, s[4:5]
	s_waitcnt lgkmcnt(0)
	s_barrier
	s_and_saveexec_b64 s[4:5], s[2:3]
	s_cbranch_execz .LBB0_19
; %bb.18:
	v_add_u32_e32 v48, 0x400, v95
	ds_read2_b64 v[68:71], v48 offset0:68 offset1:166
	v_add_u32_e32 v48, 0x800, v95
	ds_read2_b64 v[64:67], v48 offset0:136 offset1:234
	;; [unrolled: 2-line block ×4, first 2 shown]
	v_add_u32_e32 v48, 0x1c00, v95
	ds_read2_b64 v[56:59], v95 offset1:98
	ds_read2_b64 v[48:51], v48 offset0:84 offset1:182
	ds_read_b64 v[85:86], v95 offset:9408
.LBB0_19:
	s_or_b64 exec, exec, s[4:5]
	s_waitcnt lgkmcnt(0)
	s_barrier
	s_and_saveexec_b64 s[4:5], s[2:3]
	s_cbranch_execz .LBB0_21
; %bb.20:
	v_mul_f32_e32 v87, v23, v85
	v_mul_f32_e32 v88, v13, v58
	v_fma_f32 v87, v22, v86, -v87
	v_fma_f32 v88, v12, v59, -v88
	v_add_f32_e32 v89, v87, v88
	v_mul_f32_e32 v59, v13, v59
	v_mul_f32_e32 v23, v23, v86
	;; [unrolled: 1-line block ×3, first 2 shown]
	v_fmac_f32_e32 v59, v12, v58
	v_fmac_f32_e32 v23, v22, v85
	v_sub_f32_e32 v12, v59, v23
	v_mov_b32_e32 v13, v90
	v_fmac_f32_e32 v13, 0x3e750f2a, v12
	v_add_f32_e32 v22, v57, v13
	v_mul_f32_e32 v13, v21, v50
	v_fma_f32 v58, v20, v51, -v13
	v_mul_f32_e32 v13, v15, v68
	v_fma_f32 v85, v14, v69, -v13
	v_mul_f32_e32 v69, v15, v69
	v_add_f32_e32 v86, v58, v85
	v_fmac_f32_e32 v69, v14, v68
	v_mul_f32_e32 v14, v21, v51
	v_mul_f32_e32 v91, 0x3f62ad3f, v86
	v_fmac_f32_e32 v14, v20, v50
	v_sub_f32_e32 v13, v69, v14
	v_mov_b32_e32 v15, v91
	v_mul_f32_e32 v20, v19, v48
	v_mul_f32_e32 v21, v5, v70
	v_fmac_f32_e32 v15, 0xbeedf032, v13
	v_fma_f32 v20, v18, v49, -v20
	v_fma_f32 v21, v4, v71, -v21
	v_add_f32_e32 v15, v15, v22
	v_add_f32_e32 v22, v20, v21
	v_mul_f32_e32 v51, v5, v71
	v_mul_f32_e32 v19, v19, v49
	;; [unrolled: 1-line block ×3, first 2 shown]
	v_fmac_f32_e32 v51, v4, v70
	v_fmac_f32_e32 v19, v18, v48
	v_sub_f32_e32 v68, v51, v19
	v_mov_b32_e32 v4, v50
	v_fmac_f32_e32 v4, 0x3f29c268, v68
	v_mul_f32_e32 v5, v17, v54
	v_add_f32_e32 v4, v4, v15
	v_fma_f32 v15, v16, v55, -v5
	v_mul_f32_e32 v5, v7, v64
	v_fma_f32 v18, v6, v65, -v5
	v_add_f32_e32 v48, v15, v18
	v_mul_f32_e32 v65, v7, v65
	v_mul_f32_e32 v17, v17, v55
	;; [unrolled: 1-line block ×3, first 2 shown]
	v_fmac_f32_e32 v65, v6, v64
	v_fmac_f32_e32 v17, v16, v54
	v_sub_f32_e32 v54, v65, v17
	v_mov_b32_e32 v5, v49
	v_fmac_f32_e32 v5, 0xbf52af12, v54
	v_add_f32_e32 v4, v5, v4
	v_mul_f32_e32 v5, v11, v52
	v_fma_f32 v16, v10, v53, -v5
	v_mul_f32_e32 v5, v1, v66
	v_fma_f32 v55, v0, v67, -v5
	v_mul_f32_e32 v67, v1, v67
	v_mul_f32_e32 v1, v9, v62
	v_fmac_f32_e32 v67, v0, v66
	v_fma_f32 v66, v8, v63, -v1
	v_mul_f32_e32 v1, v3, v60
	v_add_f32_e32 v64, v16, v55
	v_mul_f32_e32 v53, v11, v53
	v_fma_f32 v71, v2, v61, -v1
	v_mul_f32_e32 v61, v3, v61
	v_mul_f32_e32 v70, 0xbeb58ec6, v64
	v_fmac_f32_e32 v53, v10, v52
	v_add_f32_e32 v10, v66, v71
	v_fmac_f32_e32 v61, v2, v60
	v_mul_f32_e32 v60, v9, v63
	v_sub_f32_e32 v52, v67, v53
	v_mov_b32_e32 v0, v70
	v_mul_f32_e32 v92, 0x3df6dbef, v10
	v_fmac_f32_e32 v60, v8, v62
	v_fmac_f32_e32 v0, 0x3f6f5d39, v52
	v_sub_f32_e32 v62, v61, v60
	v_mov_b32_e32 v1, v92
	v_sub_f32_e32 v93, v88, v87
	v_add_f32_e32 v0, v0, v4
	v_fmac_f32_e32 v1, 0xbf7e222b, v62
	v_mul_f32_e32 v94, 0xbe750f2a, v93
	v_sub_f32_e32 v101, v85, v58
	v_add_f32_e32 v1, v1, v0
	v_add_f32_e32 v63, v23, v59
	v_mov_b32_e32 v0, v94
	v_mul_f32_e32 v104, 0x3eedf032, v101
	v_fmac_f32_e32 v0, 0xbf788fa5, v63
	v_add_f32_e32 v100, v14, v69
	v_mov_b32_e32 v2, v104
	v_sub_f32_e32 v106, v21, v20
	v_add_f32_e32 v0, v56, v0
	v_fmac_f32_e32 v2, 0x3f62ad3f, v100
	v_mul_f32_e32 v107, 0xbf29c268, v106
	v_add_f32_e32 v0, v2, v0
	v_add_f32_e32 v105, v19, v51
	v_mov_b32_e32 v2, v107
	v_sub_f32_e32 v109, v18, v15
	v_fmac_f32_e32 v2, 0xbf3f9e67, v105
	v_mul_f32_e32 v110, 0x3f52af12, v109
	v_add_f32_e32 v0, v2, v0
	v_add_f32_e32 v108, v17, v65
	v_mov_b32_e32 v2, v110
	v_sub_f32_e32 v112, v55, v16
	;; [unrolled: 6-line block ×3, first 2 shown]
	v_fmac_f32_e32 v2, 0xbeb58ec6, v111
	v_mul_f32_e32 v116, 0x3f7e222b, v115
	v_add_f32_e32 v0, v2, v0
	v_add_f32_e32 v114, v60, v61
	v_mov_b32_e32 v2, v116
	v_fmac_f32_e32 v2, 0x3df6dbef, v114
	v_mul_f32_e32 v117, 0xbf3f9e67, v89
	v_add_f32_e32 v0, v2, v0
	v_mov_b32_e32 v2, v117
	v_mul_f32_e32 v118, 0x3df6dbef, v86
	v_fmac_f32_e32 v2, 0x3f29c268, v12
	v_mov_b32_e32 v3, v118
	v_add_f32_e32 v2, v57, v2
	v_fmac_f32_e32 v3, 0xbf7e222b, v13
	v_mul_f32_e32 v119, 0x3f116cb1, v22
	v_add_f32_e32 v2, v3, v2
	v_mov_b32_e32 v3, v119
	v_fmac_f32_e32 v3, 0x3f52af12, v68
	v_mul_f32_e32 v120, 0xbf788fa5, v48
	v_add_f32_e32 v2, v3, v2
	v_mov_b32_e32 v3, v120
	v_fmac_f32_e32 v3, 0xbe750f2a, v54
	v_mul_f32_e32 v121, 0x3f62ad3f, v64
	v_add_f32_e32 v2, v3, v2
	v_mov_b32_e32 v3, v121
	v_fmac_f32_e32 v3, 0xbeedf032, v52
	v_mul_f32_e32 v122, 0xbeb58ec6, v10
	v_add_f32_e32 v2, v3, v2
	v_mov_b32_e32 v3, v122
	v_fmac_f32_e32 v3, 0x3f6f5d39, v62
	v_mul_f32_e32 v123, 0xbf29c268, v93
	v_add_f32_e32 v3, v3, v2
	v_mov_b32_e32 v2, v123
	v_mul_f32_e32 v124, 0x3f7e222b, v101
	v_fmac_f32_e32 v2, 0xbf3f9e67, v63
	v_mov_b32_e32 v4, v124
	v_add_f32_e32 v2, v56, v2
	v_fmac_f32_e32 v4, 0x3df6dbef, v100
	v_mul_f32_e32 v125, 0xbf52af12, v106
	v_add_f32_e32 v2, v4, v2
	v_mov_b32_e32 v4, v125
	v_fmac_f32_e32 v4, 0x3f116cb1, v105
	v_mul_f32_e32 v126, 0x3e750f2a, v109
	v_add_f32_e32 v2, v4, v2
	v_mov_b32_e32 v4, v126
	v_fmac_f32_e32 v4, 0xbf788fa5, v108
	v_mul_f32_e32 v127, 0x3eedf032, v112
	v_add_f32_e32 v2, v4, v2
	v_mov_b32_e32 v4, v127
	v_fmac_f32_e32 v4, 0x3f62ad3f, v111
	v_mul_f32_e32 v128, 0xbf6f5d39, v115
	;; [unrolled: 24-line block ×8, first 2 shown]
	v_add_f32_e32 v8, v11, v8
	v_mov_b32_e32 v11, v164
	v_fmac_f32_e32 v11, 0x3f62ad3f, v114
	v_mul_f32_e32 v89, 0x3f62ad3f, v89
	v_add_f32_e32 v8, v11, v8
	v_mov_b32_e32 v11, v89
	v_mul_f32_e32 v86, 0x3f116cb1, v86
	v_fmac_f32_e32 v11, 0x3eedf032, v12
	v_mov_b32_e32 v165, v86
	v_add_f32_e32 v11, v57, v11
	v_fmac_f32_e32 v165, 0x3f52af12, v13
	v_add_f32_e32 v11, v165, v11
	v_mul_f32_e32 v165, 0x3df6dbef, v22
	v_mov_b32_e32 v22, v165
	v_fmac_f32_e32 v22, 0x3f7e222b, v68
	v_mul_f32_e32 v166, 0xbeb58ec6, v48
	v_add_f32_e32 v11, v22, v11
	v_mov_b32_e32 v22, v166
	v_fmac_f32_e32 v22, 0x3f6f5d39, v54
	v_mul_f32_e32 v64, 0xbf3f9e67, v64
	v_add_f32_e32 v11, v22, v11
	v_mov_b32_e32 v22, v64
	v_mul_f32_e32 v167, 0xbf788fa5, v10
	v_fmac_f32_e32 v22, 0x3f29c268, v52
	v_mov_b32_e32 v10, v167
	v_add_f32_e32 v11, v22, v11
	v_fmac_f32_e32 v10, 0x3e750f2a, v62
	v_mul_f32_e32 v93, 0xbeedf032, v93
	v_add_f32_e32 v11, v10, v11
	v_mov_b32_e32 v10, v93
	v_mul_f32_e32 v101, 0xbf52af12, v101
	v_fmac_f32_e32 v10, 0x3f62ad3f, v63
	v_mov_b32_e32 v22, v101
	v_add_f32_e32 v10, v56, v10
	v_fmac_f32_e32 v22, 0x3f116cb1, v100
	v_mul_f32_e32 v106, 0xbf7e222b, v106
	v_add_f32_e32 v10, v22, v10
	v_mov_b32_e32 v22, v106
	v_fmac_f32_e32 v22, 0x3df6dbef, v105
	v_mul_f32_e32 v109, 0xbf6f5d39, v109
	v_add_f32_e32 v10, v22, v10
	v_mov_b32_e32 v22, v109
	;; [unrolled: 4-line block ×4, first 2 shown]
	v_fmac_f32_e32 v22, 0xbf788fa5, v114
	v_add_f32_e32 v10, v22, v10
	v_add_f32_e32 v22, v88, v57
	;; [unrolled: 1-line block ×20, first 2 shown]
	v_fmac_f32_e32 v90, 0xbe750f2a, v12
	v_add_f32_e32 v14, v14, v16
	v_add_f32_e32 v16, v57, v90
	v_fmac_f32_e32 v91, 0x3eedf032, v13
	v_add_f32_e32 v16, v91, v16
	v_fmac_f32_e32 v50, 0xbf29c268, v68
	;; [unrolled: 2-line block ×4, first 2 shown]
	s_mov_b32 s2, 0xbf788fa5
	v_add_f32_e32 v16, v70, v16
	v_fmac_f32_e32 v92, 0x3f7e222b, v62
	s_mov_b32 s3, 0x3f62ad3f
	v_add_f32_e32 v17, v92, v16
	v_fma_f32 v16, v63, s2, -v94
	s_mov_b32 s6, 0xbf3f9e67
	v_add_f32_e32 v16, v56, v16
	v_fma_f32 v18, v100, s3, -v104
	;; [unrolled: 3-line block ×5, first 2 shown]
	v_add_f32_e32 v16, v18, v16
	v_fma_f32 v18, v114, s15, -v116
	v_fmac_f32_e32 v117, 0xbf29c268, v12
	v_add_f32_e32 v16, v18, v16
	v_add_f32_e32 v18, v57, v117
	v_fmac_f32_e32 v118, 0x3f7e222b, v13
	v_add_f32_e32 v18, v118, v18
	v_fmac_f32_e32 v119, 0xbf52af12, v68
	;; [unrolled: 2-line block ×5, first 2 shown]
	v_add_f32_e32 v19, v122, v18
	v_fma_f32 v18, v63, s6, -v123
	v_add_f32_e32 v15, v20, v15
	v_add_f32_e32 v18, v56, v18
	v_fma_f32 v20, v100, s15, -v124
	v_add_f32_e32 v18, v20, v18
	v_fma_f32 v20, v105, s7, -v125
	;; [unrolled: 2-line block ×5, first 2 shown]
	v_fmac_f32_e32 v129, 0xbf6f5d39, v12
	v_add_f32_e32 v18, v20, v18
	v_add_f32_e32 v20, v57, v129
	v_fmac_f32_e32 v130, 0x3f29c268, v13
	v_add_f32_e32 v20, v130, v20
	v_fmac_f32_e32 v131, 0x3eedf032, v68
	;; [unrolled: 2-line block ×5, first 2 shown]
	v_add_f32_e32 v21, v134, v20
	v_fma_f32 v20, v63, s14, -v135
	v_add_f32_e32 v20, v56, v20
	v_fma_f32 v22, v100, s6, -v136
	;; [unrolled: 2-line block ×6, first 2 shown]
	v_fmac_f32_e32 v141, 0xbf7e222b, v12
	v_add_f32_e32 v20, v22, v20
	v_add_f32_e32 v22, v57, v141
	v_fmac_f32_e32 v142, 0xbe750f2a, v13
	v_add_f32_e32 v22, v142, v22
	v_fmac_f32_e32 v143, 0x3f6f5d39, v68
	;; [unrolled: 2-line block ×5, first 2 shown]
	v_add_f32_e32 v14, v23, v14
	v_add_f32_e32 v23, v146, v22
	v_fma_f32 v22, v63, s15, -v147
	v_add_f32_e32 v22, v56, v22
	v_fma_f32 v48, v100, s2, -v148
	;; [unrolled: 2-line block ×6, first 2 shown]
	v_fmac_f32_e32 v153, 0xbf52af12, v12
	v_add_f32_e32 v22, v48, v22
	v_add_f32_e32 v48, v57, v153
	v_fmac_f32_e32 v154, 0xbf6f5d39, v13
	v_add_f32_e32 v48, v154, v48
	v_fmac_f32_e32 v155, 0xbe750f2a, v68
	;; [unrolled: 2-line block ×5, first 2 shown]
	v_fmac_f32_e32 v89, 0xbeedf032, v12
	v_add_f32_e32 v49, v158, v48
	v_fma_f32 v48, v63, s7, -v159
	v_add_f32_e32 v12, v57, v89
	v_fmac_f32_e32 v86, 0xbf52af12, v13
	v_add_f32_e32 v48, v56, v48
	v_fma_f32 v50, v100, s14, -v160
	v_add_f32_e32 v12, v86, v12
	;; [unrolled: 4-line block ×6, first 2 shown]
	v_fma_f32 v12, v63, s3, -v93
	v_add_f32_e32 v48, v50, v48
	v_add_f32_e32 v12, v56, v12
	v_fma_f32 v50, v100, s7, -v101
	v_add_f32_e32 v12, v50, v12
	v_fma_f32 v50, v105, s15, -v106
	;; [unrolled: 2-line block ×5, first 2 shown]
	v_add_f32_e32 v12, v50, v12
	v_mul_u32_u24_e32 v50, 26, v102
	v_add_f32_e32 v15, v58, v15
	v_or_b32_e32 v50, v50, v99
	v_add_f32_e32 v15, v87, v15
	v_lshlrev_b32_e32 v50, 3, v50
	ds_write2_b64 v50, v[14:15], v[10:11] offset1:2
	ds_write2_b64 v50, v[8:9], v[6:7] offset0:4 offset1:6
	ds_write2_b64 v50, v[4:5], v[2:3] offset0:8 offset1:10
	;; [unrolled: 1-line block ×5, first 2 shown]
	ds_write_b64 v50, v[12:13] offset:192
.LBB0_21:
	s_or_b64 exec, exec, s[4:5]
	s_waitcnt lgkmcnt(0)
	s_barrier
	ds_read2_b64 v[0:3], v95 offset1:182
	v_add_u32_e32 v14, 0xa00, v95
	ds_read2_b64 v[4:7], v14 offset0:44 offset1:226
	v_add_u32_e32 v15, 0x1600, v95
	ds_read2_b64 v[8:11], v15 offset0:24 offset1:206
	ds_read_b64 v[12:13], v95 offset:8736
	s_waitcnt lgkmcnt(3)
	v_mul_f32_e32 v16, v33, v3
	v_fmac_f32_e32 v16, v32, v2
	v_mul_f32_e32 v2, v33, v2
	v_fma_f32 v2, v32, v3, -v2
	s_waitcnt lgkmcnt(2)
	v_mul_f32_e32 v3, v35, v5
	v_fmac_f32_e32 v3, v34, v4
	v_mul_f32_e32 v4, v35, v4
	v_fma_f32 v4, v34, v5, -v4
	v_mul_f32_e32 v5, v29, v7
	v_fmac_f32_e32 v5, v28, v6
	v_mul_f32_e32 v6, v29, v6
	v_fma_f32 v6, v28, v7, -v6
	s_waitcnt lgkmcnt(1)
	v_mul_f32_e32 v7, v31, v9
	v_fmac_f32_e32 v7, v30, v8
	v_mul_f32_e32 v8, v31, v8
	v_fma_f32 v8, v30, v9, -v8
	;; [unrolled: 9-line block ×3, first 2 shown]
	v_add_f32_e32 v13, v16, v11
	v_add_f32_e32 v17, v2, v12
	v_sub_f32_e32 v2, v2, v12
	v_add_f32_e32 v12, v3, v9
	v_sub_f32_e32 v11, v16, v11
	;; [unrolled: 2-line block ×6, first 2 shown]
	v_add_f32_e32 v8, v16, v17
	v_add_f32_e32 v7, v9, v7
	;; [unrolled: 1-line block ×4, first 2 shown]
	v_sub_f32_e32 v18, v12, v13
	v_sub_f32_e32 v19, v16, v17
	;; [unrolled: 1-line block ×6, first 2 shown]
	v_add_f32_e32 v20, v5, v3
	v_add_f32_e32 v21, v6, v4
	v_sub_f32_e32 v22, v5, v3
	v_sub_f32_e32 v23, v6, v4
	;; [unrolled: 1-line block ×4, first 2 shown]
	v_add_f32_e32 v1, v1, v8
	v_mov_b32_e32 v24, v0
	v_sub_f32_e32 v5, v11, v5
	v_sub_f32_e32 v6, v2, v6
	v_add_f32_e32 v9, v20, v11
	v_add_f32_e32 v2, v21, v2
	v_mul_f32_e32 v10, 0x3f4a47b2, v13
	v_mul_f32_e32 v11, 0x3f4a47b2, v17
	;; [unrolled: 1-line block ×6, first 2 shown]
	s_mov_b32 s2, 0xbf5ff5aa
	v_mul_f32_e32 v22, 0xbf5ff5aa, v3
	v_mul_f32_e32 v23, 0xbf5ff5aa, v4
	v_fmac_f32_e32 v24, 0xbf955555, v7
	v_mov_b32_e32 v7, v1
	s_mov_b32 s3, 0x3f3bfb3b
	s_mov_b32 s4, 0xbf3bfb3b
	;; [unrolled: 1-line block ×3, first 2 shown]
	v_fmac_f32_e32 v7, 0xbf955555, v8
	v_fma_f32 v8, v18, s3, -v13
	v_fma_f32 v13, v19, s3, -v17
	;; [unrolled: 1-line block ×3, first 2 shown]
	v_fmac_f32_e32 v10, 0x3d64c772, v12
	v_fma_f32 v12, v19, s4, -v11
	v_fmac_f32_e32 v11, 0x3d64c772, v16
	v_fma_f32 v16, v3, s2, -v20
	;; [unrolled: 2-line block ×4, first 2 shown]
	v_fma_f32 v22, v6, s5, -v23
	v_add_f32_e32 v23, v10, v24
	v_add_f32_e32 v25, v11, v7
	;; [unrolled: 1-line block ×6, first 2 shown]
	v_fmac_f32_e32 v20, 0xbee1c552, v9
	v_fmac_f32_e32 v21, 0xbee1c552, v2
	;; [unrolled: 1-line block ×6, first 2 shown]
	v_add_f32_e32 v2, v21, v23
	v_sub_f32_e32 v3, v25, v20
	v_add_f32_e32 v4, v22, v11
	v_sub_f32_e32 v5, v12, v19
	v_sub_f32_e32 v6, v8, v18
	v_add_f32_e32 v7, v16, v10
	v_add_f32_e32 v8, v18, v8
	v_sub_f32_e32 v9, v10, v16
	v_sub_f32_e32 v10, v11, v22
	v_add_f32_e32 v11, v19, v12
	v_sub_f32_e32 v12, v23, v21
	v_add_f32_e32 v13, v20, v25
	s_barrier
	ds_write2_b64 v103, v[0:1], v[2:3] offset1:26
	ds_write2_b64 v103, v[4:5], v[6:7] offset0:52 offset1:78
	ds_write2_b64 v103, v[8:9], v[10:11] offset0:104 offset1:130
	ds_write_b64 v103, v[12:13] offset:1248
	s_waitcnt lgkmcnt(0)
	s_barrier
	ds_read2_b64 v[0:3], v95 offset1:182
	ds_read2_b64 v[4:7], v14 offset0:44 offset1:226
	ds_read2_b64 v[8:11], v15 offset0:24 offset1:206
	ds_read_b64 v[12:13], v95 offset:8736
	s_mul_hi_u32 s7, s8, 0xfffffe39
	s_waitcnt lgkmcnt(3)
	v_mul_f32_e32 v16, v45, v3
	v_fmac_f32_e32 v16, v44, v2
	v_mul_f32_e32 v2, v45, v2
	v_fma_f32 v2, v44, v3, -v2
	s_waitcnt lgkmcnt(2)
	v_mul_f32_e32 v3, v47, v5
	v_fmac_f32_e32 v3, v46, v4
	v_mul_f32_e32 v4, v47, v4
	v_fma_f32 v4, v46, v5, -v4
	v_mul_f32_e32 v5, v41, v7
	v_fmac_f32_e32 v5, v40, v6
	v_mul_f32_e32 v6, v41, v6
	v_fma_f32 v6, v40, v7, -v6
	s_waitcnt lgkmcnt(1)
	v_mul_f32_e32 v7, v43, v9
	v_fmac_f32_e32 v7, v42, v8
	v_mul_f32_e32 v8, v43, v8
	v_fma_f32 v8, v42, v9, -v8
	;; [unrolled: 9-line block ×3, first 2 shown]
	v_add_f32_e32 v13, v16, v11
	v_add_f32_e32 v17, v2, v12
	v_sub_f32_e32 v2, v2, v12
	v_add_f32_e32 v12, v3, v9
	v_sub_f32_e32 v11, v16, v11
	;; [unrolled: 2-line block ×6, first 2 shown]
	v_add_f32_e32 v8, v16, v17
	v_add_f32_e32 v7, v9, v7
	;; [unrolled: 1-line block ×4, first 2 shown]
	v_sub_f32_e32 v18, v12, v13
	v_sub_f32_e32 v19, v16, v17
	;; [unrolled: 1-line block ×6, first 2 shown]
	v_add_f32_e32 v20, v5, v3
	v_add_f32_e32 v21, v6, v4
	v_sub_f32_e32 v22, v5, v3
	v_sub_f32_e32 v23, v6, v4
	v_add_f32_e32 v1, v1, v8
	v_mov_b32_e32 v24, v0
	v_sub_f32_e32 v5, v11, v5
	v_sub_f32_e32 v6, v2, v6
	v_sub_f32_e32 v3, v3, v11
	v_sub_f32_e32 v4, v4, v2
	v_add_f32_e32 v9, v20, v11
	v_add_f32_e32 v2, v21, v2
	v_mul_f32_e32 v10, 0x3f4a47b2, v13
	v_mul_f32_e32 v11, 0x3f4a47b2, v17
	;; [unrolled: 1-line block ×6, first 2 shown]
	v_fmac_f32_e32 v24, 0xbf955555, v7
	v_mov_b32_e32 v7, v1
	v_mul_f32_e32 v22, 0xbf5ff5aa, v3
	v_mul_f32_e32 v23, 0xbf5ff5aa, v4
	v_fmac_f32_e32 v7, 0xbf955555, v8
	v_fma_f32 v8, v18, s3, -v13
	v_fma_f32 v13, v19, s3, -v17
	;; [unrolled: 1-line block ×3, first 2 shown]
	v_fmac_f32_e32 v10, 0x3d64c772, v12
	v_fma_f32 v12, v19, s4, -v11
	v_fmac_f32_e32 v11, 0x3d64c772, v16
	v_fma_f32 v16, v3, s2, -v20
	;; [unrolled: 2-line block ×4, first 2 shown]
	v_fma_f32 v22, v6, s5, -v23
	v_add_f32_e32 v23, v10, v24
	v_add_f32_e32 v25, v11, v7
	v_fmac_f32_e32 v20, 0xbee1c552, v9
	v_fmac_f32_e32 v21, 0xbee1c552, v2
	v_add_f32_e32 v8, v8, v24
	v_add_f32_e32 v10, v13, v7
	;; [unrolled: 1-line block ×4, first 2 shown]
	v_fmac_f32_e32 v16, 0xbee1c552, v9
	v_fmac_f32_e32 v18, 0xbee1c552, v2
	;; [unrolled: 1-line block ×4, first 2 shown]
	v_add_f32_e32 v2, v21, v23
	v_sub_f32_e32 v3, v25, v20
	v_add_f32_e32 v4, v22, v11
	v_sub_f32_e32 v5, v12, v19
	v_sub_f32_e32 v6, v8, v18
	v_add_f32_e32 v7, v16, v10
	v_add_f32_e32 v8, v18, v8
	v_sub_f32_e32 v9, v10, v16
	v_sub_f32_e32 v10, v11, v22
	v_add_f32_e32 v11, v19, v12
	v_sub_f32_e32 v12, v23, v21
	v_add_f32_e32 v13, v20, v25
	ds_write2_b64 v95, v[0:1], v[2:3] offset1:182
	ds_write2_b64 v14, v[4:5], v[6:7] offset0:44 offset1:226
	ds_write2_b64 v15, v[8:9], v[10:11] offset0:24 offset1:206
	ds_write_b64 v95, v[12:13] offset:8736
	s_waitcnt lgkmcnt(0)
	s_barrier
	ds_read2_b64 v[0:3], v95 offset1:182
	v_mad_u64_u32 v[8:9], s[2:3], s10, v76, 0
	s_mov_b32 s2, 0xf5262dd1
	s_mov_b32 s3, 0x3f49b876
	s_waitcnt lgkmcnt(0)
	v_mul_f32_e32 v4, v84, v1
	v_fmac_f32_e32 v4, v83, v0
	v_cvt_f64_f32_e32 v[4:5], v4
	v_mul_f32_e32 v0, v84, v0
	v_fma_f32 v0, v83, v1, -v0
	v_cvt_f64_f32_e32 v[0:1], v0
	v_mul_f64 v[4:5], v[4:5], s[2:3]
	v_mad_u64_u32 v[10:11], s[4:5], s8, v98, 0
	v_mov_b32_e32 v6, v9
	v_mad_u64_u32 v[6:7], s[4:5], s11, v76, v[6:7]
	v_mul_f64 v[0:1], v[0:1], s[2:3]
	s_mul_i32 s6, s9, 0xfffffe39
	v_cvt_f32_f64_e32 v12, v[4:5]
	v_mov_b32_e32 v4, v11
	v_mad_u64_u32 v[14:15], s[4:5], s9, v98, v[4:5]
	v_add_u32_e32 v4, 0x1200, v95
	v_mov_b32_e32 v9, v6
	ds_read2_b64 v[4:7], v4 offset0:61 offset1:243
	v_cvt_f32_f64_e32 v13, v[0:1]
	v_lshlrev_b64 v[0:1], 3, v[8:9]
	v_mov_b32_e32 v11, v14
	v_mov_b32_e32 v14, s13
	s_waitcnt lgkmcnt(0)
	v_mul_f32_e32 v8, v82, v5
	v_fmac_f32_e32 v8, v81, v4
	v_mul_f32_e32 v4, v82, v4
	v_fma_f32 v4, v81, v5, -v4
	v_cvt_f64_f32_e32 v[8:9], v8
	v_cvt_f64_f32_e32 v[4:5], v4
	v_add_co_u32_e32 v15, vcc, s12, v0
	v_addc_co_u32_e32 v14, vcc, v14, v1, vcc
	v_mul_f64 v[0:1], v[8:9], s[2:3]
	v_mul_f64 v[4:5], v[4:5], s[2:3]
	v_lshlrev_b64 v[8:9], 3, v[10:11]
	s_mul_i32 s4, s9, 0x27d
	s_mul_hi_u32 s5, s8, 0x27d
	v_add_co_u32_e32 v8, vcc, v15, v8
	s_add_i32 s5, s5, s4
	v_cvt_f32_f64_e32 v0, v[0:1]
	v_cvt_f32_f64_e32 v1, v[4:5]
	v_mul_f32_e32 v4, v80, v3
	v_fmac_f32_e32 v4, v79, v2
	v_mul_f32_e32 v2, v80, v2
	v_fma_f32 v2, v79, v3, -v2
	v_cvt_f64_f32_e32 v[4:5], v4
	v_cvt_f64_f32_e32 v[2:3], v2
	s_mul_i32 s4, s8, 0x27d
	v_addc_co_u32_e32 v9, vcc, v14, v9, vcc
	v_mul_f64 v[4:5], v[4:5], s[2:3]
	v_mul_f64 v[2:3], v[2:3], s[2:3]
	s_lshl_b64 s[4:5], s[4:5], 3
	global_store_dwordx2 v[8:9], v[12:13], off
	v_mov_b32_e32 v12, s5
	v_add_co_u32_e32 v8, vcc, s4, v8
	v_addc_co_u32_e32 v9, vcc, v9, v12, vcc
	global_store_dwordx2 v[8:9], v[0:1], off
	v_cvt_f32_f64_e32 v0, v[4:5]
	v_cvt_f32_f64_e32 v1, v[2:3]
	v_mul_f32_e32 v2, v78, v7
	v_mul_f32_e32 v4, v78, v6
	v_fmac_f32_e32 v2, v77, v6
	v_fma_f32 v4, v77, v7, -v4
	v_cvt_f64_f32_e32 v[2:3], v2
	v_cvt_f64_f32_e32 v[4:5], v4
	s_sub_i32 s7, s7, s8
	s_add_i32 s7, s7, s6
	s_mul_i32 s6, s8, 0xfffffe39
	v_mul_f64 v[2:3], v[2:3], s[2:3]
	v_mul_f64 v[4:5], v[4:5], s[2:3]
	s_lshl_b64 s[6:7], s[6:7], 3
	v_mov_b32_e32 v13, s7
	v_add_co_u32_e32 v6, vcc, s6, v8
	v_addc_co_u32_e32 v7, vcc, v9, v13, vcc
	ds_read_b64 v[8:9], v95 offset:2912
	global_store_dwordx2 v[6:7], v[0:1], off
	v_cvt_f32_f64_e32 v0, v[2:3]
	ds_read_b64 v[2:3], v95 offset:8008
	v_cvt_f32_f64_e32 v1, v[4:5]
	s_waitcnt lgkmcnt(1)
	v_mul_f32_e32 v4, v73, v9
	v_fmac_f32_e32 v4, v72, v8
	v_cvt_f64_f32_e32 v[4:5], v4
	v_mul_f32_e32 v8, v73, v8
	v_fma_f32 v8, v72, v9, -v8
	s_waitcnt lgkmcnt(0)
	v_mul_f32_e32 v10, v75, v3
	v_mul_f64 v[4:5], v[4:5], s[2:3]
	v_cvt_f64_f32_e32 v[8:9], v8
	v_fmac_f32_e32 v10, v74, v2
	v_mul_f32_e32 v2, v75, v2
	v_fma_f32 v2, v74, v3, -v2
	v_cvt_f64_f32_e32 v[10:11], v10
	v_cvt_f64_f32_e32 v[2:3], v2
	v_add_co_u32_e32 v6, vcc, s4, v6
	v_mul_f64 v[8:9], v[8:9], s[2:3]
	v_addc_co_u32_e32 v7, vcc, v7, v12, vcc
	global_store_dwordx2 v[6:7], v[0:1], off
	v_cvt_f32_f64_e32 v0, v[4:5]
	v_mul_f64 v[4:5], v[10:11], s[2:3]
	v_mul_f64 v[2:3], v[2:3], s[2:3]
	v_add_co_u32_e32 v6, vcc, s6, v6
	v_cvt_f32_f64_e32 v1, v[8:9]
	v_addc_co_u32_e32 v7, vcc, v7, v13, vcc
	v_cvt_f32_f64_e32 v4, v[4:5]
	v_cvt_f32_f64_e32 v5, v[2:3]
	global_store_dwordx2 v[6:7], v[0:1], off
	v_add_co_u32_e32 v0, vcc, s4, v6
	v_addc_co_u32_e32 v1, vcc, v7, v12, vcc
	global_store_dwordx2 v[0:1], v[4:5], off
	s_and_b64 exec, exec, s[0:1]
	s_cbranch_execz .LBB0_23
; %bb.22:
	v_add_co_u32_e32 v2, vcc, 0x1000, v96
	v_addc_co_u32_e32 v3, vcc, 0, v97, vcc
	s_movk_i32 s0, 0x2000
	v_add_co_u32_e32 v4, vcc, s0, v96
	global_load_dwordx2 v[2:3], v[2:3], off offset:272
	v_addc_co_u32_e32 v5, vcc, 0, v97, vcc
	global_load_dwordx2 v[4:5], v[4:5], off offset:1272
	ds_read_b64 v[6:7], v95 offset:4368
	ds_read_b64 v[8:9], v95 offset:9464
	v_mov_b32_e32 v10, s7
	v_add_co_u32_e32 v0, vcc, s6, v0
	v_addc_co_u32_e32 v1, vcc, v1, v10, vcc
	v_mov_b32_e32 v11, s5
	s_waitcnt vmcnt(1) lgkmcnt(1)
	v_mul_f32_e32 v12, v7, v3
	v_mul_f32_e32 v3, v6, v3
	v_fmac_f32_e32 v12, v6, v2
	s_waitcnt vmcnt(0) lgkmcnt(0)
	v_mul_f32_e32 v13, v9, v5
	v_mul_f32_e32 v5, v8, v5
	v_fma_f32 v6, v2, v7, -v3
	v_fmac_f32_e32 v13, v8, v4
	v_fma_f32 v8, v4, v9, -v5
	v_cvt_f64_f32_e32 v[2:3], v12
	v_cvt_f64_f32_e32 v[4:5], v6
	;; [unrolled: 1-line block ×4, first 2 shown]
	v_mul_f64 v[2:3], v[2:3], s[2:3]
	v_mul_f64 v[4:5], v[4:5], s[2:3]
	;; [unrolled: 1-line block ×4, first 2 shown]
	v_cvt_f32_f64_e32 v2, v[2:3]
	v_cvt_f32_f64_e32 v3, v[4:5]
	;; [unrolled: 1-line block ×4, first 2 shown]
	v_add_co_u32_e32 v6, vcc, s4, v0
	v_addc_co_u32_e32 v7, vcc, v1, v11, vcc
	global_store_dwordx2 v[0:1], v[2:3], off
	global_store_dwordx2 v[6:7], v[4:5], off
.LBB0_23:
	s_endpgm
	.section	.rodata,"a",@progbits
	.p2align	6, 0x0
	.amdhsa_kernel bluestein_single_fwd_len1274_dim1_sp_op_CI_CI
		.amdhsa_group_segment_fixed_size 10192
		.amdhsa_private_segment_fixed_size 0
		.amdhsa_kernarg_size 104
		.amdhsa_user_sgpr_count 6
		.amdhsa_user_sgpr_private_segment_buffer 1
		.amdhsa_user_sgpr_dispatch_ptr 0
		.amdhsa_user_sgpr_queue_ptr 0
		.amdhsa_user_sgpr_kernarg_segment_ptr 1
		.amdhsa_user_sgpr_dispatch_id 0
		.amdhsa_user_sgpr_flat_scratch_init 0
		.amdhsa_user_sgpr_private_segment_size 0
		.amdhsa_uses_dynamic_stack 0
		.amdhsa_system_sgpr_private_segment_wavefront_offset 0
		.amdhsa_system_sgpr_workgroup_id_x 1
		.amdhsa_system_sgpr_workgroup_id_y 0
		.amdhsa_system_sgpr_workgroup_id_z 0
		.amdhsa_system_sgpr_workgroup_info 0
		.amdhsa_system_vgpr_workitem_id 0
		.amdhsa_next_free_vgpr 228
		.amdhsa_next_free_sgpr 21
		.amdhsa_reserve_vcc 1
		.amdhsa_reserve_flat_scratch 0
		.amdhsa_float_round_mode_32 0
		.amdhsa_float_round_mode_16_64 0
		.amdhsa_float_denorm_mode_32 3
		.amdhsa_float_denorm_mode_16_64 3
		.amdhsa_dx10_clamp 1
		.amdhsa_ieee_mode 1
		.amdhsa_fp16_overflow 0
		.amdhsa_exception_fp_ieee_invalid_op 0
		.amdhsa_exception_fp_denorm_src 0
		.amdhsa_exception_fp_ieee_div_zero 0
		.amdhsa_exception_fp_ieee_overflow 0
		.amdhsa_exception_fp_ieee_underflow 0
		.amdhsa_exception_fp_ieee_inexact 0
		.amdhsa_exception_int_div_zero 0
	.end_amdhsa_kernel
	.text
.Lfunc_end0:
	.size	bluestein_single_fwd_len1274_dim1_sp_op_CI_CI, .Lfunc_end0-bluestein_single_fwd_len1274_dim1_sp_op_CI_CI
                                        ; -- End function
	.section	.AMDGPU.csdata,"",@progbits
; Kernel info:
; codeLenInByte = 12180
; NumSgprs: 25
; NumVgprs: 228
; ScratchSize: 0
; MemoryBound: 0
; FloatMode: 240
; IeeeMode: 1
; LDSByteSize: 10192 bytes/workgroup (compile time only)
; SGPRBlocks: 3
; VGPRBlocks: 56
; NumSGPRsForWavesPerEU: 25
; NumVGPRsForWavesPerEU: 228
; Occupancy: 1
; WaveLimiterHint : 1
; COMPUTE_PGM_RSRC2:SCRATCH_EN: 0
; COMPUTE_PGM_RSRC2:USER_SGPR: 6
; COMPUTE_PGM_RSRC2:TRAP_HANDLER: 0
; COMPUTE_PGM_RSRC2:TGID_X_EN: 1
; COMPUTE_PGM_RSRC2:TGID_Y_EN: 0
; COMPUTE_PGM_RSRC2:TGID_Z_EN: 0
; COMPUTE_PGM_RSRC2:TIDIG_COMP_CNT: 0
	.type	__hip_cuid_cf2b8459ff25828e,@object ; @__hip_cuid_cf2b8459ff25828e
	.section	.bss,"aw",@nobits
	.globl	__hip_cuid_cf2b8459ff25828e
__hip_cuid_cf2b8459ff25828e:
	.byte	0                               ; 0x0
	.size	__hip_cuid_cf2b8459ff25828e, 1

	.ident	"AMD clang version 19.0.0git (https://github.com/RadeonOpenCompute/llvm-project roc-6.4.0 25133 c7fe45cf4b819c5991fe208aaa96edf142730f1d)"
	.section	".note.GNU-stack","",@progbits
	.addrsig
	.addrsig_sym __hip_cuid_cf2b8459ff25828e
	.amdgpu_metadata
---
amdhsa.kernels:
  - .args:
      - .actual_access:  read_only
        .address_space:  global
        .offset:         0
        .size:           8
        .value_kind:     global_buffer
      - .actual_access:  read_only
        .address_space:  global
        .offset:         8
        .size:           8
        .value_kind:     global_buffer
      - .actual_access:  read_only
        .address_space:  global
        .offset:         16
        .size:           8
        .value_kind:     global_buffer
      - .actual_access:  read_only
        .address_space:  global
        .offset:         24
        .size:           8
        .value_kind:     global_buffer
      - .actual_access:  read_only
        .address_space:  global
        .offset:         32
        .size:           8
        .value_kind:     global_buffer
      - .offset:         40
        .size:           8
        .value_kind:     by_value
      - .address_space:  global
        .offset:         48
        .size:           8
        .value_kind:     global_buffer
      - .address_space:  global
        .offset:         56
        .size:           8
        .value_kind:     global_buffer
      - .address_space:  global
        .offset:         64
        .size:           8
        .value_kind:     global_buffer
      - .address_space:  global
        .offset:         72
        .size:           8
        .value_kind:     global_buffer
      - .offset:         80
        .size:           4
        .value_kind:     by_value
      - .address_space:  global
        .offset:         88
        .size:           8
        .value_kind:     global_buffer
      - .address_space:  global
        .offset:         96
        .size:           8
        .value_kind:     global_buffer
    .group_segment_fixed_size: 10192
    .kernarg_segment_align: 8
    .kernarg_segment_size: 104
    .language:       OpenCL C
    .language_version:
      - 2
      - 0
    .max_flat_workgroup_size: 182
    .name:           bluestein_single_fwd_len1274_dim1_sp_op_CI_CI
    .private_segment_fixed_size: 0
    .sgpr_count:     25
    .sgpr_spill_count: 0
    .symbol:         bluestein_single_fwd_len1274_dim1_sp_op_CI_CI.kd
    .uniform_work_group_size: 1
    .uses_dynamic_stack: false
    .vgpr_count:     228
    .vgpr_spill_count: 0
    .wavefront_size: 64
amdhsa.target:   amdgcn-amd-amdhsa--gfx906
amdhsa.version:
  - 1
  - 2
...

	.end_amdgpu_metadata
